;; amdgpu-corpus repo=ROCm/rocThrust kind=compiled arch=gfx1100 opt=O3
	.text
	.amdgcn_target "amdgcn-amd-amdhsa--gfx1100"
	.amdhsa_code_object_version 6
	.section	.text._ZN6thrust23THRUST_200600_302600_NS11hip_rocprim14__parallel_for6kernelILj256ENS1_20__uninitialized_fill7functorINS0_10device_ptrIiEEiEEmLj1EEEvT0_T1_SA_,"axG",@progbits,_ZN6thrust23THRUST_200600_302600_NS11hip_rocprim14__parallel_for6kernelILj256ENS1_20__uninitialized_fill7functorINS0_10device_ptrIiEEiEEmLj1EEEvT0_T1_SA_,comdat
	.protected	_ZN6thrust23THRUST_200600_302600_NS11hip_rocprim14__parallel_for6kernelILj256ENS1_20__uninitialized_fill7functorINS0_10device_ptrIiEEiEEmLj1EEEvT0_T1_SA_ ; -- Begin function _ZN6thrust23THRUST_200600_302600_NS11hip_rocprim14__parallel_for6kernelILj256ENS1_20__uninitialized_fill7functorINS0_10device_ptrIiEEiEEmLj1EEEvT0_T1_SA_
	.globl	_ZN6thrust23THRUST_200600_302600_NS11hip_rocprim14__parallel_for6kernelILj256ENS1_20__uninitialized_fill7functorINS0_10device_ptrIiEEiEEmLj1EEEvT0_T1_SA_
	.p2align	8
	.type	_ZN6thrust23THRUST_200600_302600_NS11hip_rocprim14__parallel_for6kernelILj256ENS1_20__uninitialized_fill7functorINS0_10device_ptrIiEEiEEmLj1EEEvT0_T1_SA_,@function
_ZN6thrust23THRUST_200600_302600_NS11hip_rocprim14__parallel_for6kernelILj256ENS1_20__uninitialized_fill7functorINS0_10device_ptrIiEEiEEmLj1EEEvT0_T1_SA_: ; @_ZN6thrust23THRUST_200600_302600_NS11hip_rocprim14__parallel_for6kernelILj256ENS1_20__uninitialized_fill7functorINS0_10device_ptrIiEEiEEmLj1EEEvT0_T1_SA_
; %bb.0:
	s_load_b128 s[4:7], s[0:1], 0x10
	s_lshl_b32 s2, s15, 8
	s_waitcnt lgkmcnt(0)
	s_add_u32 s2, s2, s6
	s_addc_u32 s3, 0, s7
	s_sub_u32 s4, s4, s2
	s_subb_u32 s5, s5, s3
	s_delay_alu instid0(SALU_CYCLE_1) | instskip(NEXT) | instid1(VALU_DEP_1)
	v_cmp_gt_u64_e64 s5, 0x100, s[4:5]
	s_and_b32 vcc_lo, exec_lo, s5
	s_mov_b32 s5, 0
	s_cbranch_vccz .LBB0_2
; %bb.1:
	v_cmp_gt_u32_e32 vcc_lo, s4, v0
	s_and_b32 s5, vcc_lo, exec_lo
	s_cbranch_execz .LBB0_3
	s_branch .LBB0_4
.LBB0_2:
.LBB0_3:
	s_or_b32 s5, s5, exec_lo
.LBB0_4:
	s_delay_alu instid0(SALU_CYCLE_1)
	s_and_saveexec_b32 s4, s5
	s_cbranch_execnz .LBB0_6
; %bb.5:
	s_endpgm
.LBB0_6:
	s_clause 0x1
	s_load_b64 s[4:5], s[0:1], 0x0
	s_load_b32 s6, s[0:1], 0x8
	v_mov_b32_e32 v1, 0
	s_lshl_b64 s[0:1], s[2:3], 2
	s_waitcnt lgkmcnt(0)
	s_add_u32 s0, s4, s0
	v_mov_b32_e32 v2, s6
	v_lshlrev_b64 v[0:1], 2, v[0:1]
	s_addc_u32 s1, s5, s1
	s_delay_alu instid0(VALU_DEP_1) | instskip(NEXT) | instid1(VALU_DEP_2)
	v_add_co_u32 v0, vcc_lo, s0, v0
	v_add_co_ci_u32_e32 v1, vcc_lo, s1, v1, vcc_lo
	flat_store_b32 v[0:1], v2
	s_endpgm
	.section	.rodata,"a",@progbits
	.p2align	6, 0x0
	.amdhsa_kernel _ZN6thrust23THRUST_200600_302600_NS11hip_rocprim14__parallel_for6kernelILj256ENS1_20__uninitialized_fill7functorINS0_10device_ptrIiEEiEEmLj1EEEvT0_T1_SA_
		.amdhsa_group_segment_fixed_size 0
		.amdhsa_private_segment_fixed_size 0
		.amdhsa_kernarg_size 32
		.amdhsa_user_sgpr_count 15
		.amdhsa_user_sgpr_dispatch_ptr 0
		.amdhsa_user_sgpr_queue_ptr 0
		.amdhsa_user_sgpr_kernarg_segment_ptr 1
		.amdhsa_user_sgpr_dispatch_id 0
		.amdhsa_user_sgpr_private_segment_size 0
		.amdhsa_wavefront_size32 1
		.amdhsa_uses_dynamic_stack 0
		.amdhsa_enable_private_segment 0
		.amdhsa_system_sgpr_workgroup_id_x 1
		.amdhsa_system_sgpr_workgroup_id_y 0
		.amdhsa_system_sgpr_workgroup_id_z 0
		.amdhsa_system_sgpr_workgroup_info 0
		.amdhsa_system_vgpr_workitem_id 0
		.amdhsa_next_free_vgpr 3
		.amdhsa_next_free_sgpr 16
		.amdhsa_reserve_vcc 1
		.amdhsa_float_round_mode_32 0
		.amdhsa_float_round_mode_16_64 0
		.amdhsa_float_denorm_mode_32 3
		.amdhsa_float_denorm_mode_16_64 3
		.amdhsa_dx10_clamp 1
		.amdhsa_ieee_mode 1
		.amdhsa_fp16_overflow 0
		.amdhsa_workgroup_processor_mode 1
		.amdhsa_memory_ordered 1
		.amdhsa_forward_progress 0
		.amdhsa_shared_vgpr_count 0
		.amdhsa_exception_fp_ieee_invalid_op 0
		.amdhsa_exception_fp_denorm_src 0
		.amdhsa_exception_fp_ieee_div_zero 0
		.amdhsa_exception_fp_ieee_overflow 0
		.amdhsa_exception_fp_ieee_underflow 0
		.amdhsa_exception_fp_ieee_inexact 0
		.amdhsa_exception_int_div_zero 0
	.end_amdhsa_kernel
	.section	.text._ZN6thrust23THRUST_200600_302600_NS11hip_rocprim14__parallel_for6kernelILj256ENS1_20__uninitialized_fill7functorINS0_10device_ptrIiEEiEEmLj1EEEvT0_T1_SA_,"axG",@progbits,_ZN6thrust23THRUST_200600_302600_NS11hip_rocprim14__parallel_for6kernelILj256ENS1_20__uninitialized_fill7functorINS0_10device_ptrIiEEiEEmLj1EEEvT0_T1_SA_,comdat
.Lfunc_end0:
	.size	_ZN6thrust23THRUST_200600_302600_NS11hip_rocprim14__parallel_for6kernelILj256ENS1_20__uninitialized_fill7functorINS0_10device_ptrIiEEiEEmLj1EEEvT0_T1_SA_, .Lfunc_end0-_ZN6thrust23THRUST_200600_302600_NS11hip_rocprim14__parallel_for6kernelILj256ENS1_20__uninitialized_fill7functorINS0_10device_ptrIiEEiEEmLj1EEEvT0_T1_SA_
                                        ; -- End function
	.section	.AMDGPU.csdata,"",@progbits
; Kernel info:
; codeLenInByte = 176
; NumSgprs: 18
; NumVgprs: 3
; ScratchSize: 0
; MemoryBound: 0
; FloatMode: 240
; IeeeMode: 1
; LDSByteSize: 0 bytes/workgroup (compile time only)
; SGPRBlocks: 2
; VGPRBlocks: 0
; NumSGPRsForWavesPerEU: 18
; NumVGPRsForWavesPerEU: 3
; Occupancy: 16
; WaveLimiterHint : 0
; COMPUTE_PGM_RSRC2:SCRATCH_EN: 0
; COMPUTE_PGM_RSRC2:USER_SGPR: 15
; COMPUTE_PGM_RSRC2:TRAP_HANDLER: 0
; COMPUTE_PGM_RSRC2:TGID_X_EN: 1
; COMPUTE_PGM_RSRC2:TGID_Y_EN: 0
; COMPUTE_PGM_RSRC2:TGID_Z_EN: 0
; COMPUTE_PGM_RSRC2:TIDIG_COMP_CNT: 0
	.section	.text._ZN6thrust23THRUST_200600_302600_NS11hip_rocprim14__parallel_for6kernelILj256ENS1_10__tabulate7functorINS0_6detail15normal_iteratorINS0_10device_ptrIiEEEENS0_6system6detail7generic6detail22compute_sequence_valueIivEElEElLj1EEEvT0_T1_SJ_,"axG",@progbits,_ZN6thrust23THRUST_200600_302600_NS11hip_rocprim14__parallel_for6kernelILj256ENS1_10__tabulate7functorINS0_6detail15normal_iteratorINS0_10device_ptrIiEEEENS0_6system6detail7generic6detail22compute_sequence_valueIivEElEElLj1EEEvT0_T1_SJ_,comdat
	.protected	_ZN6thrust23THRUST_200600_302600_NS11hip_rocprim14__parallel_for6kernelILj256ENS1_10__tabulate7functorINS0_6detail15normal_iteratorINS0_10device_ptrIiEEEENS0_6system6detail7generic6detail22compute_sequence_valueIivEElEElLj1EEEvT0_T1_SJ_ ; -- Begin function _ZN6thrust23THRUST_200600_302600_NS11hip_rocprim14__parallel_for6kernelILj256ENS1_10__tabulate7functorINS0_6detail15normal_iteratorINS0_10device_ptrIiEEEENS0_6system6detail7generic6detail22compute_sequence_valueIivEElEElLj1EEEvT0_T1_SJ_
	.globl	_ZN6thrust23THRUST_200600_302600_NS11hip_rocprim14__parallel_for6kernelILj256ENS1_10__tabulate7functorINS0_6detail15normal_iteratorINS0_10device_ptrIiEEEENS0_6system6detail7generic6detail22compute_sequence_valueIivEElEElLj1EEEvT0_T1_SJ_
	.p2align	8
	.type	_ZN6thrust23THRUST_200600_302600_NS11hip_rocprim14__parallel_for6kernelILj256ENS1_10__tabulate7functorINS0_6detail15normal_iteratorINS0_10device_ptrIiEEEENS0_6system6detail7generic6detail22compute_sequence_valueIivEElEElLj1EEEvT0_T1_SJ_,@function
_ZN6thrust23THRUST_200600_302600_NS11hip_rocprim14__parallel_for6kernelILj256ENS1_10__tabulate7functorINS0_6detail15normal_iteratorINS0_10device_ptrIiEEEENS0_6system6detail7generic6detail22compute_sequence_valueIivEElEElLj1EEEvT0_T1_SJ_: ; @_ZN6thrust23THRUST_200600_302600_NS11hip_rocprim14__parallel_for6kernelILj256ENS1_10__tabulate7functorINS0_6detail15normal_iteratorINS0_10device_ptrIiEEEENS0_6system6detail7generic6detail22compute_sequence_valueIivEElEElLj1EEEvT0_T1_SJ_
; %bb.0:
	s_load_b128 s[4:7], s[0:1], 0x10
	s_lshl_b32 s2, s15, 8
	s_waitcnt lgkmcnt(0)
	s_add_u32 s2, s2, s6
	s_addc_u32 s3, 0, s7
	s_sub_u32 s4, s4, s2
	s_subb_u32 s5, s5, s3
	s_delay_alu instid0(SALU_CYCLE_1) | instskip(NEXT) | instid1(VALU_DEP_1)
	v_cmp_gt_i64_e64 s5, 0x100, s[4:5]
	s_and_b32 s5, s5, exec_lo
	s_cselect_b32 s4, s4, 0x100
	s_delay_alu instid0(SALU_CYCLE_1) | instskip(SKIP_2) | instid1(SALU_CYCLE_1)
	v_cmp_gt_u32_e32 vcc_lo, s4, v0
	s_cmpk_eq_i32 s4, 0x100
	s_cselect_b32 s4, -1, 0
	s_or_b32 s4, s4, vcc_lo
	s_delay_alu instid0(SALU_CYCLE_1)
	s_and_saveexec_b32 s5, s4
	s_cbranch_execz .LBB1_2
; %bb.1:
	s_load_b128 s[4:7], s[0:1], 0x0
	v_add_co_u32 v0, s0, s2, v0
	s_delay_alu instid0(VALU_DEP_1) | instskip(NEXT) | instid1(VALU_DEP_1)
	v_add_co_ci_u32_e64 v1, null, s3, 0, s0
	v_lshlrev_b64 v[1:2], 2, v[0:1]
	s_waitcnt lgkmcnt(0)
	v_mad_u64_u32 v[3:4], null, s7, v0, s[6:7]
	s_delay_alu instid0(VALU_DEP_2) | instskip(NEXT) | instid1(VALU_DEP_3)
	v_add_co_u32 v0, vcc_lo, s4, v1
	v_add_co_ci_u32_e32 v1, vcc_lo, s5, v2, vcc_lo
	flat_store_b32 v[0:1], v3
.LBB1_2:
	s_endpgm
	.section	.rodata,"a",@progbits
	.p2align	6, 0x0
	.amdhsa_kernel _ZN6thrust23THRUST_200600_302600_NS11hip_rocprim14__parallel_for6kernelILj256ENS1_10__tabulate7functorINS0_6detail15normal_iteratorINS0_10device_ptrIiEEEENS0_6system6detail7generic6detail22compute_sequence_valueIivEElEElLj1EEEvT0_T1_SJ_
		.amdhsa_group_segment_fixed_size 0
		.amdhsa_private_segment_fixed_size 0
		.amdhsa_kernarg_size 32
		.amdhsa_user_sgpr_count 15
		.amdhsa_user_sgpr_dispatch_ptr 0
		.amdhsa_user_sgpr_queue_ptr 0
		.amdhsa_user_sgpr_kernarg_segment_ptr 1
		.amdhsa_user_sgpr_dispatch_id 0
		.amdhsa_user_sgpr_private_segment_size 0
		.amdhsa_wavefront_size32 1
		.amdhsa_uses_dynamic_stack 0
		.amdhsa_enable_private_segment 0
		.amdhsa_system_sgpr_workgroup_id_x 1
		.amdhsa_system_sgpr_workgroup_id_y 0
		.amdhsa_system_sgpr_workgroup_id_z 0
		.amdhsa_system_sgpr_workgroup_info 0
		.amdhsa_system_vgpr_workitem_id 0
		.amdhsa_next_free_vgpr 5
		.amdhsa_next_free_sgpr 16
		.amdhsa_reserve_vcc 1
		.amdhsa_float_round_mode_32 0
		.amdhsa_float_round_mode_16_64 0
		.amdhsa_float_denorm_mode_32 3
		.amdhsa_float_denorm_mode_16_64 3
		.amdhsa_dx10_clamp 1
		.amdhsa_ieee_mode 1
		.amdhsa_fp16_overflow 0
		.amdhsa_workgroup_processor_mode 1
		.amdhsa_memory_ordered 1
		.amdhsa_forward_progress 0
		.amdhsa_shared_vgpr_count 0
		.amdhsa_exception_fp_ieee_invalid_op 0
		.amdhsa_exception_fp_denorm_src 0
		.amdhsa_exception_fp_ieee_div_zero 0
		.amdhsa_exception_fp_ieee_overflow 0
		.amdhsa_exception_fp_ieee_underflow 0
		.amdhsa_exception_fp_ieee_inexact 0
		.amdhsa_exception_int_div_zero 0
	.end_amdhsa_kernel
	.section	.text._ZN6thrust23THRUST_200600_302600_NS11hip_rocprim14__parallel_for6kernelILj256ENS1_10__tabulate7functorINS0_6detail15normal_iteratorINS0_10device_ptrIiEEEENS0_6system6detail7generic6detail22compute_sequence_valueIivEElEElLj1EEEvT0_T1_SJ_,"axG",@progbits,_ZN6thrust23THRUST_200600_302600_NS11hip_rocprim14__parallel_for6kernelILj256ENS1_10__tabulate7functorINS0_6detail15normal_iteratorINS0_10device_ptrIiEEEENS0_6system6detail7generic6detail22compute_sequence_valueIivEElEElLj1EEEvT0_T1_SJ_,comdat
.Lfunc_end1:
	.size	_ZN6thrust23THRUST_200600_302600_NS11hip_rocprim14__parallel_for6kernelILj256ENS1_10__tabulate7functorINS0_6detail15normal_iteratorINS0_10device_ptrIiEEEENS0_6system6detail7generic6detail22compute_sequence_valueIivEElEElLj1EEEvT0_T1_SJ_, .Lfunc_end1-_ZN6thrust23THRUST_200600_302600_NS11hip_rocprim14__parallel_for6kernelILj256ENS1_10__tabulate7functorINS0_6detail15normal_iteratorINS0_10device_ptrIiEEEENS0_6system6detail7generic6detail22compute_sequence_valueIivEElEElLj1EEEvT0_T1_SJ_
                                        ; -- End function
	.section	.AMDGPU.csdata,"",@progbits
; Kernel info:
; codeLenInByte = 168
; NumSgprs: 18
; NumVgprs: 5
; ScratchSize: 0
; MemoryBound: 0
; FloatMode: 240
; IeeeMode: 1
; LDSByteSize: 0 bytes/workgroup (compile time only)
; SGPRBlocks: 2
; VGPRBlocks: 0
; NumSGPRsForWavesPerEU: 18
; NumVGPRsForWavesPerEU: 5
; Occupancy: 16
; WaveLimiterHint : 0
; COMPUTE_PGM_RSRC2:SCRATCH_EN: 0
; COMPUTE_PGM_RSRC2:USER_SGPR: 15
; COMPUTE_PGM_RSRC2:TRAP_HANDLER: 0
; COMPUTE_PGM_RSRC2:TGID_X_EN: 1
; COMPUTE_PGM_RSRC2:TGID_Y_EN: 0
; COMPUTE_PGM_RSRC2:TGID_Z_EN: 0
; COMPUTE_PGM_RSRC2:TIDIG_COMP_CNT: 0
	.section	.text._ZN6thrust23THRUST_200600_302600_NS11hip_rocprim14__parallel_for6kernelILj256ENS1_11__transform18binary_transform_fINS0_31transform_input_output_iteratorI20ValueToScaledInteger20ScaledIntegerToValueNS0_6detail15normal_iteratorINS0_10device_ptrIiEEEEEESE_SE_NS4_14no_stencil_tagENS0_4plusI13ScaledIntegerEENS4_21always_true_predicateEEElLj1EEEvT0_T1_SM_,"axG",@progbits,_ZN6thrust23THRUST_200600_302600_NS11hip_rocprim14__parallel_for6kernelILj256ENS1_11__transform18binary_transform_fINS0_31transform_input_output_iteratorI20ValueToScaledInteger20ScaledIntegerToValueNS0_6detail15normal_iteratorINS0_10device_ptrIiEEEEEESE_SE_NS4_14no_stencil_tagENS0_4plusI13ScaledIntegerEENS4_21always_true_predicateEEElLj1EEEvT0_T1_SM_,comdat
	.protected	_ZN6thrust23THRUST_200600_302600_NS11hip_rocprim14__parallel_for6kernelILj256ENS1_11__transform18binary_transform_fINS0_31transform_input_output_iteratorI20ValueToScaledInteger20ScaledIntegerToValueNS0_6detail15normal_iteratorINS0_10device_ptrIiEEEEEESE_SE_NS4_14no_stencil_tagENS0_4plusI13ScaledIntegerEENS4_21always_true_predicateEEElLj1EEEvT0_T1_SM_ ; -- Begin function _ZN6thrust23THRUST_200600_302600_NS11hip_rocprim14__parallel_for6kernelILj256ENS1_11__transform18binary_transform_fINS0_31transform_input_output_iteratorI20ValueToScaledInteger20ScaledIntegerToValueNS0_6detail15normal_iteratorINS0_10device_ptrIiEEEEEESE_SE_NS4_14no_stencil_tagENS0_4plusI13ScaledIntegerEENS4_21always_true_predicateEEElLj1EEEvT0_T1_SM_
	.globl	_ZN6thrust23THRUST_200600_302600_NS11hip_rocprim14__parallel_for6kernelILj256ENS1_11__transform18binary_transform_fINS0_31transform_input_output_iteratorI20ValueToScaledInteger20ScaledIntegerToValueNS0_6detail15normal_iteratorINS0_10device_ptrIiEEEEEESE_SE_NS4_14no_stencil_tagENS0_4plusI13ScaledIntegerEENS4_21always_true_predicateEEElLj1EEEvT0_T1_SM_
	.p2align	8
	.type	_ZN6thrust23THRUST_200600_302600_NS11hip_rocprim14__parallel_for6kernelILj256ENS1_11__transform18binary_transform_fINS0_31transform_input_output_iteratorI20ValueToScaledInteger20ScaledIntegerToValueNS0_6detail15normal_iteratorINS0_10device_ptrIiEEEEEESE_SE_NS4_14no_stencil_tagENS0_4plusI13ScaledIntegerEENS4_21always_true_predicateEEElLj1EEEvT0_T1_SM_,@function
_ZN6thrust23THRUST_200600_302600_NS11hip_rocprim14__parallel_for6kernelILj256ENS1_11__transform18binary_transform_fINS0_31transform_input_output_iteratorI20ValueToScaledInteger20ScaledIntegerToValueNS0_6detail15normal_iteratorINS0_10device_ptrIiEEEEEESE_SE_NS4_14no_stencil_tagENS0_4plusI13ScaledIntegerEENS4_21always_true_predicateEEElLj1EEEvT0_T1_SM_: ; @_ZN6thrust23THRUST_200600_302600_NS11hip_rocprim14__parallel_for6kernelILj256ENS1_11__transform18binary_transform_fINS0_31transform_input_output_iteratorI20ValueToScaledInteger20ScaledIntegerToValueNS0_6detail15normal_iteratorINS0_10device_ptrIiEEEEEESE_SE_NS4_14no_stencil_tagENS0_4plusI13ScaledIntegerEENS4_21always_true_predicateEEElLj1EEEvT0_T1_SM_
; %bb.0:
	s_clause 0x4
	s_load_b128 s[16:19], s[0:1], 0x38
	s_load_b64 s[6:7], s[0:1], 0x0
	s_load_b32 s8, s[0:1], 0x8
	s_load_b64 s[4:5], s[0:1], 0x10
	s_load_b32 s3, s[0:1], 0x18
	s_lshl_b32 s2, s15, 8
	s_waitcnt lgkmcnt(0)
	s_add_u32 s9, s2, s18
	s_addc_u32 s10, 0, s19
	s_sub_u32 s12, s16, s9
	s_subb_u32 s13, s17, s10
	s_delay_alu instid0(SALU_CYCLE_1) | instskip(SKIP_1) | instid1(VALU_DEP_1)
	v_cmp_gt_i64_e64 s2, 0x100, s[12:13]
	s_mov_b32 s13, 0
	s_and_b32 s2, s2, exec_lo
	s_cselect_b32 s2, s12, 0x100
	s_delay_alu instid0(SALU_CYCLE_1)
	s_cmpk_lg_i32 s2, 0x100
	s_cbranch_scc0 .LBB2_4
; %bb.1:
	v_cmp_gt_u32_e32 vcc_lo, s2, v0
	s_mov_b32 s11, 0
                                        ; implicit-def: $vgpr3
                                        ; implicit-def: $sgpr2
                                        ; implicit-def: $vgpr1_vgpr2
	s_and_saveexec_b32 s12, vcc_lo
	s_cbranch_execz .LBB2_5
; %bb.2:
	v_add_co_u32 v1, s2, s9, v0
	s_delay_alu instid0(VALU_DEP_1) | instskip(SKIP_1) | instid1(VALU_DEP_1)
	v_add_co_ci_u32_e64 v2, null, s10, 0, s2
	s_cmp_ge_i32 s3, s8
	v_lshlrev_b64 v[3:4], 2, v[1:2]
	s_delay_alu instid0(VALU_DEP_1) | instskip(NEXT) | instid1(VALU_DEP_2)
	v_add_co_u32 v5, vcc_lo, s6, v3
	v_add_co_ci_u32_e32 v6, vcc_lo, s7, v4, vcc_lo
	v_add_co_u32 v7, vcc_lo, s4, v3
	v_add_co_ci_u32_e32 v8, vcc_lo, s5, v4, vcc_lo
	global_load_b32 v3, v[5:6], off
	global_load_b32 v4, v[7:8], off
	s_cbranch_scc0 .LBB2_6
; %bb.3:
	s_cmp_lt_i32 s8, s3
	s_cselect_b32 vcc_lo, -1, 0
	s_sub_i32 s13, s8, s3
	s_delay_alu instid0(SALU_CYCLE_1) | instskip(SKIP_4) | instid1(SALU_CYCLE_1)
	s_cmp_lt_i32 s13, 0
	s_waitcnt vmcnt(0)
	v_ashrrev_i32_e32 v5, s13, v4
	s_cselect_b32 s2, -1, 0
	s_sub_i32 s13, 0, s13
	v_lshlrev_b32_e32 v6, s13, v4
	s_delay_alu instid0(VALU_DEP_1) | instskip(NEXT) | instid1(VALU_DEP_1)
	v_cndmask_b32_e64 v5, v5, v6, s2
	v_cndmask_b32_e32 v5, v4, v5, vcc_lo
	s_mov_b32 s2, s8
	s_cbranch_execz .LBB2_7
	s_branch .LBB2_8
.LBB2_4:
                                        ; implicit-def: $vgpr3
                                        ; implicit-def: $sgpr2
                                        ; implicit-def: $vgpr1_vgpr2
	s_cbranch_execnz .LBB2_9
	s_branch .LBB2_14
.LBB2_5:
	s_or_b32 exec_lo, exec_lo, s12
	s_delay_alu instid0(SALU_CYCLE_1)
	s_and_b32 vcc_lo, exec_lo, s11
	s_cbranch_vccnz .LBB2_9
	s_branch .LBB2_14
.LBB2_6:
                                        ; implicit-def: $vgpr5
	s_mov_b32 s2, s8
.LBB2_7:
	s_sub_i32 s2, s3, s8
	s_delay_alu instid0(SALU_CYCLE_1) | instskip(SKIP_4) | instid1(SALU_CYCLE_1)
	s_cmp_lt_i32 s2, 0
	s_waitcnt vmcnt(1)
	v_ashrrev_i32_e32 v5, s2, v3
	s_cselect_b32 vcc_lo, -1, 0
	s_sub_i32 s2, 0, s2
	v_lshlrev_b32_e32 v3, s2, v3
	s_mov_b32 s2, s3
	s_delay_alu instid0(VALU_DEP_1)
	v_cndmask_b32_e32 v3, v5, v3, vcc_lo
	s_waitcnt vmcnt(0)
	v_mov_b32_e32 v5, v4
.LBB2_8:
	s_waitcnt vmcnt(1)
	s_delay_alu instid0(VALU_DEP_1) | instskip(SKIP_2) | instid1(SALU_CYCLE_1)
	v_add_nc_u32_e32 v3, v5, v3
	s_mov_b32 s13, exec_lo
	s_or_b32 exec_lo, exec_lo, s12
	s_and_b32 vcc_lo, exec_lo, s11
	s_cbranch_vccz .LBB2_14
.LBB2_9:
	v_add_co_u32 v1, s2, s9, v0
	s_delay_alu instid0(VALU_DEP_1) | instskip(SKIP_2) | instid1(VALU_DEP_1)
	v_add_co_ci_u32_e64 v2, null, s10, 0, s2
	s_cmp_ge_i32 s3, s8
	s_waitcnt vmcnt(0)
	v_lshlrev_b64 v[3:4], 2, v[1:2]
	s_delay_alu instid0(VALU_DEP_1) | instskip(NEXT) | instid1(VALU_DEP_2)
	v_add_co_u32 v5, vcc_lo, s6, v3
	v_add_co_ci_u32_e32 v6, vcc_lo, s7, v4, vcc_lo
	v_add_co_u32 v3, vcc_lo, s4, v3
	v_add_co_ci_u32_e32 v4, vcc_lo, s5, v4, vcc_lo
	global_load_b32 v0, v[5:6], off
	global_load_b32 v3, v[3:4], off
	s_cbranch_scc0 .LBB2_11
; %bb.10:
	s_cmp_lt_i32 s8, s3
	s_cselect_b32 vcc_lo, -1, 0
	s_sub_i32 s4, s8, s3
	s_delay_alu instid0(SALU_CYCLE_1) | instskip(SKIP_4) | instid1(SALU_CYCLE_1)
	s_cmp_lt_i32 s4, 0
	s_waitcnt vmcnt(0)
	v_ashrrev_i32_e32 v4, s4, v3
	s_cselect_b32 s2, -1, 0
	s_sub_i32 s4, 0, s4
	v_lshlrev_b32_e32 v5, s4, v3
	s_delay_alu instid0(VALU_DEP_1) | instskip(NEXT) | instid1(VALU_DEP_1)
	v_cndmask_b32_e64 v4, v4, v5, s2
	v_cndmask_b32_e32 v4, v3, v4, vcc_lo
	s_cbranch_execz .LBB2_12
	s_branch .LBB2_13
.LBB2_11:
                                        ; implicit-def: $vgpr4
.LBB2_12:
	s_sub_i32 s2, s3, s8
	s_mov_b32 s8, s3
	s_cmp_lt_i32 s2, 0
	s_waitcnt vmcnt(1)
	v_ashrrev_i32_e32 v4, s2, v0
	s_cselect_b32 vcc_lo, -1, 0
	s_sub_i32 s2, 0, s2
	s_delay_alu instid0(SALU_CYCLE_1) | instskip(NEXT) | instid1(VALU_DEP_1)
	v_lshlrev_b32_e32 v0, s2, v0
	v_cndmask_b32_e32 v0, v4, v0, vcc_lo
	s_waitcnt vmcnt(0)
	v_mov_b32_e32 v4, v3
.LBB2_13:
	s_waitcnt vmcnt(0)
	s_delay_alu instid0(VALU_DEP_1)
	v_add_nc_u32_e32 v3, v4, v0
	s_mov_b32 s13, -1
	s_mov_b32 s2, s8
.LBB2_14:
	s_and_saveexec_b32 s3, s13
	s_cbranch_execnz .LBB2_16
; %bb.15:
	s_endpgm
.LBB2_16:
	s_clause 0x1
	s_load_b32 s3, s[0:1], 0x2c
	s_load_b64 s[0:1], s[0:1], 0x20
	v_lshlrev_b64 v[0:1], 2, v[1:2]
	s_waitcnt lgkmcnt(0)
	s_sub_i32 s2, s3, s2
	s_delay_alu instid0(VALU_DEP_1)
	v_add_co_u32 v0, s0, s0, v0
	s_cmp_lt_i32 s2, 0
	v_ashrrev_i32_e32 v2, s2, v3
	s_cselect_b32 vcc_lo, -1, 0
	s_sub_i32 s2, 0, s2
	v_add_co_ci_u32_e64 v1, s0, s1, v1, s0
	v_lshlrev_b32_e32 v3, s2, v3
	s_delay_alu instid0(VALU_DEP_1)
	v_cndmask_b32_e32 v2, v2, v3, vcc_lo
	global_store_b32 v[0:1], v2, off
	s_nop 0
	s_sendmsg sendmsg(MSG_DEALLOC_VGPRS)
	s_endpgm
	.section	.rodata,"a",@progbits
	.p2align	6, 0x0
	.amdhsa_kernel _ZN6thrust23THRUST_200600_302600_NS11hip_rocprim14__parallel_for6kernelILj256ENS1_11__transform18binary_transform_fINS0_31transform_input_output_iteratorI20ValueToScaledInteger20ScaledIntegerToValueNS0_6detail15normal_iteratorINS0_10device_ptrIiEEEEEESE_SE_NS4_14no_stencil_tagENS0_4plusI13ScaledIntegerEENS4_21always_true_predicateEEElLj1EEEvT0_T1_SM_
		.amdhsa_group_segment_fixed_size 0
		.amdhsa_private_segment_fixed_size 0
		.amdhsa_kernarg_size 72
		.amdhsa_user_sgpr_count 15
		.amdhsa_user_sgpr_dispatch_ptr 0
		.amdhsa_user_sgpr_queue_ptr 0
		.amdhsa_user_sgpr_kernarg_segment_ptr 1
		.amdhsa_user_sgpr_dispatch_id 0
		.amdhsa_user_sgpr_private_segment_size 0
		.amdhsa_wavefront_size32 1
		.amdhsa_uses_dynamic_stack 0
		.amdhsa_enable_private_segment 0
		.amdhsa_system_sgpr_workgroup_id_x 1
		.amdhsa_system_sgpr_workgroup_id_y 0
		.amdhsa_system_sgpr_workgroup_id_z 0
		.amdhsa_system_sgpr_workgroup_info 0
		.amdhsa_system_vgpr_workitem_id 0
		.amdhsa_next_free_vgpr 9
		.amdhsa_next_free_sgpr 20
		.amdhsa_reserve_vcc 1
		.amdhsa_float_round_mode_32 0
		.amdhsa_float_round_mode_16_64 0
		.amdhsa_float_denorm_mode_32 3
		.amdhsa_float_denorm_mode_16_64 3
		.amdhsa_dx10_clamp 1
		.amdhsa_ieee_mode 1
		.amdhsa_fp16_overflow 0
		.amdhsa_workgroup_processor_mode 1
		.amdhsa_memory_ordered 1
		.amdhsa_forward_progress 0
		.amdhsa_shared_vgpr_count 0
		.amdhsa_exception_fp_ieee_invalid_op 0
		.amdhsa_exception_fp_denorm_src 0
		.amdhsa_exception_fp_ieee_div_zero 0
		.amdhsa_exception_fp_ieee_overflow 0
		.amdhsa_exception_fp_ieee_underflow 0
		.amdhsa_exception_fp_ieee_inexact 0
		.amdhsa_exception_int_div_zero 0
	.end_amdhsa_kernel
	.section	.text._ZN6thrust23THRUST_200600_302600_NS11hip_rocprim14__parallel_for6kernelILj256ENS1_11__transform18binary_transform_fINS0_31transform_input_output_iteratorI20ValueToScaledInteger20ScaledIntegerToValueNS0_6detail15normal_iteratorINS0_10device_ptrIiEEEEEESE_SE_NS4_14no_stencil_tagENS0_4plusI13ScaledIntegerEENS4_21always_true_predicateEEElLj1EEEvT0_T1_SM_,"axG",@progbits,_ZN6thrust23THRUST_200600_302600_NS11hip_rocprim14__parallel_for6kernelILj256ENS1_11__transform18binary_transform_fINS0_31transform_input_output_iteratorI20ValueToScaledInteger20ScaledIntegerToValueNS0_6detail15normal_iteratorINS0_10device_ptrIiEEEEEESE_SE_NS4_14no_stencil_tagENS0_4plusI13ScaledIntegerEENS4_21always_true_predicateEEElLj1EEEvT0_T1_SM_,comdat
.Lfunc_end2:
	.size	_ZN6thrust23THRUST_200600_302600_NS11hip_rocprim14__parallel_for6kernelILj256ENS1_11__transform18binary_transform_fINS0_31transform_input_output_iteratorI20ValueToScaledInteger20ScaledIntegerToValueNS0_6detail15normal_iteratorINS0_10device_ptrIiEEEEEESE_SE_NS4_14no_stencil_tagENS0_4plusI13ScaledIntegerEENS4_21always_true_predicateEEElLj1EEEvT0_T1_SM_, .Lfunc_end2-_ZN6thrust23THRUST_200600_302600_NS11hip_rocprim14__parallel_for6kernelILj256ENS1_11__transform18binary_transform_fINS0_31transform_input_output_iteratorI20ValueToScaledInteger20ScaledIntegerToValueNS0_6detail15normal_iteratorINS0_10device_ptrIiEEEEEESE_SE_NS4_14no_stencil_tagENS0_4plusI13ScaledIntegerEENS4_21always_true_predicateEEElLj1EEEvT0_T1_SM_
                                        ; -- End function
	.section	.AMDGPU.csdata,"",@progbits
; Kernel info:
; codeLenInByte = 720
; NumSgprs: 22
; NumVgprs: 9
; ScratchSize: 0
; MemoryBound: 0
; FloatMode: 240
; IeeeMode: 1
; LDSByteSize: 0 bytes/workgroup (compile time only)
; SGPRBlocks: 2
; VGPRBlocks: 1
; NumSGPRsForWavesPerEU: 22
; NumVGPRsForWavesPerEU: 9
; Occupancy: 16
; WaveLimiterHint : 0
; COMPUTE_PGM_RSRC2:SCRATCH_EN: 0
; COMPUTE_PGM_RSRC2:USER_SGPR: 15
; COMPUTE_PGM_RSRC2:TRAP_HANDLER: 0
; COMPUTE_PGM_RSRC2:TGID_X_EN: 1
; COMPUTE_PGM_RSRC2:TGID_Y_EN: 0
; COMPUTE_PGM_RSRC2:TGID_Z_EN: 0
; COMPUTE_PGM_RSRC2:TIDIG_COMP_CNT: 0
	.text
	.p2alignl 7, 3214868480
	.fill 96, 4, 3214868480
	.type	__hip_cuid_37ecab9cc0e8d9e2,@object ; @__hip_cuid_37ecab9cc0e8d9e2
	.section	.bss,"aw",@nobits
	.globl	__hip_cuid_37ecab9cc0e8d9e2
__hip_cuid_37ecab9cc0e8d9e2:
	.byte	0                               ; 0x0
	.size	__hip_cuid_37ecab9cc0e8d9e2, 1

	.ident	"AMD clang version 19.0.0git (https://github.com/RadeonOpenCompute/llvm-project roc-6.4.0 25133 c7fe45cf4b819c5991fe208aaa96edf142730f1d)"
	.section	".note.GNU-stack","",@progbits
	.addrsig
	.addrsig_sym __hip_cuid_37ecab9cc0e8d9e2
	.amdgpu_metadata
---
amdhsa.kernels:
  - .args:
      - .offset:         0
        .size:           16
        .value_kind:     by_value
      - .offset:         16
        .size:           8
        .value_kind:     by_value
      - .offset:         24
        .size:           8
        .value_kind:     by_value
    .group_segment_fixed_size: 0
    .kernarg_segment_align: 8
    .kernarg_segment_size: 32
    .language:       OpenCL C
    .language_version:
      - 2
      - 0
    .max_flat_workgroup_size: 256
    .name:           _ZN6thrust23THRUST_200600_302600_NS11hip_rocprim14__parallel_for6kernelILj256ENS1_20__uninitialized_fill7functorINS0_10device_ptrIiEEiEEmLj1EEEvT0_T1_SA_
    .private_segment_fixed_size: 0
    .sgpr_count:     18
    .sgpr_spill_count: 0
    .symbol:         _ZN6thrust23THRUST_200600_302600_NS11hip_rocprim14__parallel_for6kernelILj256ENS1_20__uninitialized_fill7functorINS0_10device_ptrIiEEiEEmLj1EEEvT0_T1_SA_.kd
    .uniform_work_group_size: 1
    .uses_dynamic_stack: false
    .vgpr_count:     3
    .vgpr_spill_count: 0
    .wavefront_size: 32
    .workgroup_processor_mode: 1
  - .args:
      - .offset:         0
        .size:           16
        .value_kind:     by_value
      - .offset:         16
        .size:           8
        .value_kind:     by_value
      - .offset:         24
        .size:           8
        .value_kind:     by_value
    .group_segment_fixed_size: 0
    .kernarg_segment_align: 8
    .kernarg_segment_size: 32
    .language:       OpenCL C
    .language_version:
      - 2
      - 0
    .max_flat_workgroup_size: 256
    .name:           _ZN6thrust23THRUST_200600_302600_NS11hip_rocprim14__parallel_for6kernelILj256ENS1_10__tabulate7functorINS0_6detail15normal_iteratorINS0_10device_ptrIiEEEENS0_6system6detail7generic6detail22compute_sequence_valueIivEElEElLj1EEEvT0_T1_SJ_
    .private_segment_fixed_size: 0
    .sgpr_count:     18
    .sgpr_spill_count: 0
    .symbol:         _ZN6thrust23THRUST_200600_302600_NS11hip_rocprim14__parallel_for6kernelILj256ENS1_10__tabulate7functorINS0_6detail15normal_iteratorINS0_10device_ptrIiEEEENS0_6system6detail7generic6detail22compute_sequence_valueIivEElEElLj1EEEvT0_T1_SJ_.kd
    .uniform_work_group_size: 1
    .uses_dynamic_stack: false
    .vgpr_count:     5
    .vgpr_spill_count: 0
    .wavefront_size: 32
    .workgroup_processor_mode: 1
  - .args:
      - .offset:         0
        .size:           56
        .value_kind:     by_value
      - .offset:         56
        .size:           8
        .value_kind:     by_value
      - .offset:         64
        .size:           8
        .value_kind:     by_value
    .group_segment_fixed_size: 0
    .kernarg_segment_align: 8
    .kernarg_segment_size: 72
    .language:       OpenCL C
    .language_version:
      - 2
      - 0
    .max_flat_workgroup_size: 256
    .name:           _ZN6thrust23THRUST_200600_302600_NS11hip_rocprim14__parallel_for6kernelILj256ENS1_11__transform18binary_transform_fINS0_31transform_input_output_iteratorI20ValueToScaledInteger20ScaledIntegerToValueNS0_6detail15normal_iteratorINS0_10device_ptrIiEEEEEESE_SE_NS4_14no_stencil_tagENS0_4plusI13ScaledIntegerEENS4_21always_true_predicateEEElLj1EEEvT0_T1_SM_
    .private_segment_fixed_size: 0
    .sgpr_count:     22
    .sgpr_spill_count: 0
    .symbol:         _ZN6thrust23THRUST_200600_302600_NS11hip_rocprim14__parallel_for6kernelILj256ENS1_11__transform18binary_transform_fINS0_31transform_input_output_iteratorI20ValueToScaledInteger20ScaledIntegerToValueNS0_6detail15normal_iteratorINS0_10device_ptrIiEEEEEESE_SE_NS4_14no_stencil_tagENS0_4plusI13ScaledIntegerEENS4_21always_true_predicateEEElLj1EEEvT0_T1_SM_.kd
    .uniform_work_group_size: 1
    .uses_dynamic_stack: false
    .vgpr_count:     9
    .vgpr_spill_count: 0
    .wavefront_size: 32
    .workgroup_processor_mode: 1
amdhsa.target:   amdgcn-amd-amdhsa--gfx1100
amdhsa.version:
  - 1
  - 2
...

	.end_amdgpu_metadata
